;; amdgpu-corpus repo=ROCm/rocFFT kind=compiled arch=gfx1030 opt=O3
	.text
	.amdgcn_target "amdgcn-amd-amdhsa--gfx1030"
	.amdhsa_code_object_version 6
	.protected	fft_rtc_fwd_len72_factors_2_6_6_wgs_192_tpt_6_halfLds_dim2_sp_ip_CI_sbcc_twdbase8_3step_dirReg ; -- Begin function fft_rtc_fwd_len72_factors_2_6_6_wgs_192_tpt_6_halfLds_dim2_sp_ip_CI_sbcc_twdbase8_3step_dirReg
	.globl	fft_rtc_fwd_len72_factors_2_6_6_wgs_192_tpt_6_halfLds_dim2_sp_ip_CI_sbcc_twdbase8_3step_dirReg
	.p2align	8
	.type	fft_rtc_fwd_len72_factors_2_6_6_wgs_192_tpt_6_halfLds_dim2_sp_ip_CI_sbcc_twdbase8_3step_dirReg,@function
fft_rtc_fwd_len72_factors_2_6_6_wgs_192_tpt_6_halfLds_dim2_sp_ip_CI_sbcc_twdbase8_3step_dirReg: ; @fft_rtc_fwd_len72_factors_2_6_6_wgs_192_tpt_6_halfLds_dim2_sp_ip_CI_sbcc_twdbase8_3step_dirReg
; %bb.0:
	s_load_dwordx4 s[0:3], s[4:5], 0x10
	s_mov_b32 s7, 0
	s_mov_b64 s[16:17], 0
	s_waitcnt lgkmcnt(0)
	s_load_dwordx2 s[12:13], s[0:1], 0x8
	s_load_dwordx2 s[10:11], s[4:5], 0x50
	;; [unrolled: 1-line block ×3, first 2 shown]
	s_waitcnt lgkmcnt(0)
	s_add_u32 s0, s12, -1
	s_addc_u32 s1, s13, -1
	s_lshr_b64 s[0:1], s[0:1], 5
	s_add_u32 s14, s0, 1
	s_addc_u32 s15, s1, 0
	v_cmp_lt_u64_e64 s0, s[6:7], s[14:15]
	s_and_b32 vcc_lo, exec_lo, s0
	s_cbranch_vccnz .LBB0_2
; %bb.1:
	v_cvt_f32_u32_e32 v1, s14
	s_sub_i32 s1, 0, s14
	v_rcp_iflag_f32_e32 v1, v1
	v_mul_f32_e32 v1, 0x4f7ffffe, v1
	v_cvt_u32_f32_e32 v1, v1
	v_readfirstlane_b32 s0, v1
	s_mul_i32 s1, s1, s0
	s_mul_hi_u32 s1, s0, s1
	s_add_i32 s0, s0, s1
	s_mul_hi_u32 s0, s6, s0
	s_mul_i32 s1, s0, s14
	s_add_i32 s7, s0, 1
	s_sub_i32 s1, s6, s1
	s_sub_i32 s16, s1, s14
	s_cmp_ge_u32 s1, s14
	s_cselect_b32 s0, s7, s0
	s_cselect_b32 s1, s16, s1
	s_add_i32 s7, s0, 1
	s_cmp_ge_u32 s1, s14
	s_cselect_b32 s16, s7, s0
.LBB0_2:
	s_load_dwordx4 s[0:3], s[2:3], 0x8
	s_mul_i32 s7, s16, s15
	s_mul_hi_u32 s15, s16, s14
	s_mul_i32 s14, s16, s14
	s_add_i32 s15, s15, s7
	s_sub_u32 s14, s6, s14
	s_subb_u32 s15, 0, s15
	s_load_dwordx2 s[6:7], s[4:5], 0x0
	v_alignbit_b32 v1, s15, s14, 27
	s_lshl_b64 s[14:15], s[14:15], 5
	v_and_b32_e32 v29, 31, v0
	v_mov_b32_e32 v13, s15
	v_lshrrev_b32_e32 v28, 5, v0
	v_readfirstlane_b32 s17, v1
	v_or_b32_e32 v12, s14, v29
	s_waitcnt lgkmcnt(0)
	s_mul_i32 s18, s14, s1
	s_mul_hi_u32 s19, s14, s0
	s_mul_i32 s17, s17, s0
	s_mul_i32 s3, s3, s16
	s_mul_hi_u32 s21, s2, s16
	s_mul_i32 s2, s2, s16
	s_add_i32 s16, s19, s18
	s_mul_i32 s20, s14, s0
	s_add_i32 s21, s21, s3
	s_add_i32 s16, s16, s17
	s_add_u32 s2, s2, s20
	s_addc_u32 s3, s21, s16
	s_add_u32 s16, s14, 32
	s_addc_u32 s17, s15, 0
	v_cmp_gt_u64_e64 s18, s[16:17], s[12:13]
	v_cmp_le_u64_e64 s14, s[16:17], s[12:13]
	s_and_b32 vcc_lo, exec_lo, s18
	s_cbranch_vccz .LBB0_8
; %bb.3:
	s_mov_b32 s15, exec_lo
                                        ; implicit-def: $vgpr30
                                        ; implicit-def: $vgpr11
                                        ; implicit-def: $vgpr31
	v_cmpx_le_u64_e64 s[12:13], v[12:13]
	s_xor_b32 s15, exec_lo, s15
; %bb.4:
	v_add_nc_u32_e32 v30, 6, v28
	v_add_nc_u32_e32 v11, 12, v28
	v_or_b32_e32 v31, 24, v28
; %bb.5:
	s_or_saveexec_b32 s15, s15
                                        ; implicit-def: $vgpr1
                                        ; implicit-def: $vgpr3
                                        ; implicit-def: $vgpr14
                                        ; implicit-def: $vgpr20
                                        ; implicit-def: $vgpr18
                                        ; implicit-def: $vgpr22
                                        ; implicit-def: $vgpr9
                                        ; implicit-def: $vgpr16
                                        ; implicit-def: $vgpr24
                                        ; implicit-def: $vgpr26
                                        ; implicit-def: $vgpr5
                                        ; implicit-def: $vgpr7
	s_xor_b32 exec_lo, exec_lo, s15
	s_cbranch_execz .LBB0_7
; %bb.6:
	v_mad_u64_u32 v[1:2], null, s0, v29, 0
	v_mad_u64_u32 v[3:4], null, s8, v28, 0
	v_add_nc_u32_e32 v11, 36, v28
	v_add_nc_u32_e32 v30, 6, v28
	;; [unrolled: 1-line block ×3, first 2 shown]
	s_lshl_b64 s[16:17], s[2:3], 3
	v_or_b32_e32 v20, 48, v28
	s_add_u32 s16, s10, s16
	v_mad_u64_u32 v[5:6], null, s1, v29, v[2:3]
	v_mad_u64_u32 v[9:10], null, s8, v30, 0
	s_addc_u32 s17, s11, s17
	v_mad_u64_u32 v[14:15], null, s8, v16, 0
	v_add_nc_u32_e32 v22, 18, v28
	v_mad_u64_u32 v[6:7], null, s9, v28, v[4:5]
	v_mad_u64_u32 v[7:8], null, s8, v11, 0
	v_mov_b32_e32 v2, v5
	v_mad_u64_u32 v[18:19], null, s8, v22, 0
	v_add_nc_u32_e32 v24, 54, v28
	v_mov_b32_e32 v4, v6
	v_mov_b32_e32 v6, v10
	;; [unrolled: 1-line block ×3, first 2 shown]
	v_lshlrev_b64 v[1:2], 3, v[1:2]
	v_or_b32_e32 v31, 24, v28
	v_lshlrev_b64 v[3:4], 3, v[3:4]
	v_add_nc_u32_e32 v27, 60, v28
	v_mad_u64_u32 v[10:11], null, s9, v11, v[5:6]
	v_mad_u64_u32 v[5:6], null, s9, v30, v[6:7]
	v_add_co_u32 v38, vcc_lo, s16, v1
	v_add_co_ci_u32_e32 v39, vcc_lo, s17, v2, vcc_lo
	v_mov_b32_e32 v8, v10
	v_add_co_u32 v1, vcc_lo, v38, v3
	v_add_co_ci_u32_e32 v2, vcc_lo, v39, v4, vcc_lo
	v_mov_b32_e32 v10, v5
	v_lshlrev_b64 v[4:5], 3, v[7:8]
	v_mov_b32_e32 v3, v15
	v_add_nc_u32_e32 v11, 12, v28
	v_add_nc_u32_e32 v36, 30, v28
	v_mad_u64_u32 v[6:7], null, s9, v16, v[3:4]
	v_lshlrev_b64 v[7:8], 3, v[9:10]
	v_mad_u64_u32 v[9:10], null, s8, v11, 0
	v_add_co_u32 v3, vcc_lo, v38, v4
	v_mad_u64_u32 v[16:17], null, s8, v20, 0
	v_add_co_ci_u32_e32 v4, vcc_lo, v39, v5, vcc_lo
	v_mov_b32_e32 v15, v6
	v_add_co_u32 v5, vcc_lo, v38, v7
	v_mov_b32_e32 v7, v10
	v_add_co_ci_u32_e32 v6, vcc_lo, v39, v8, vcc_lo
	v_lshlrev_b64 v[14:15], 3, v[14:15]
	v_mad_u64_u32 v[32:33], null, s8, v36, 0
	v_mad_u64_u32 v[7:8], null, s9, v11, v[7:8]
	v_mov_b32_e32 v8, v17
	v_add_co_u32 v14, vcc_lo, v38, v14
	v_add_co_ci_u32_e32 v15, vcc_lo, v39, v15, vcc_lo
	v_mad_u64_u32 v[20:21], null, s9, v20, v[8:9]
	v_mov_b32_e32 v10, v7
	s_clause 0x3
	global_load_dwordx2 v[7:8], v[1:2], off
	global_load_dwordx2 v[1:2], v[3:4], off
	;; [unrolled: 1-line block ×4, first 2 shown]
	v_mov_b32_e32 v14, v19
	v_lshlrev_b64 v[9:10], 3, v[9:10]
	v_mov_b32_e32 v17, v20
	v_mad_u64_u32 v[14:15], null, s9, v22, v[14:15]
	v_mad_u64_u32 v[20:21], null, s8, v24, 0
	v_lshlrev_b64 v[15:16], 3, v[16:17]
	v_mad_u64_u32 v[22:23], null, s8, v31, 0
	v_add_co_u32 v9, vcc_lo, v38, v9
	v_mov_b32_e32 v19, v14
	v_mov_b32_e32 v14, v21
	v_add_co_ci_u32_e32 v10, vcc_lo, v39, v10, vcc_lo
	v_lshlrev_b64 v[17:18], 3, v[18:19]
	v_mad_u64_u32 v[24:25], null, s9, v24, v[14:15]
	v_add_co_u32 v14, vcc_lo, v38, v15
	v_mad_u64_u32 v[25:26], null, s8, v27, 0
	v_add_co_ci_u32_e32 v15, vcc_lo, v39, v16, vcc_lo
	v_mov_b32_e32 v16, v23
	v_mov_b32_e32 v21, v24
	v_mad_u64_u32 v[23:24], null, s9, v31, v[16:17]
	v_add_nc_u32_e32 v24, 0x42, v28
	v_mov_b32_e32 v16, v26
	v_lshlrev_b64 v[19:20], 3, v[20:21]
	v_mad_u64_u32 v[34:35], null, s8, v24, 0
	v_mad_u64_u32 v[26:27], null, s9, v27, v[16:17]
	v_add_co_u32 v16, vcc_lo, v38, v17
	v_add_co_ci_u32_e32 v17, vcc_lo, v39, v18, vcc_lo
	v_mov_b32_e32 v18, v33
	v_lshlrev_b64 v[21:22], 3, v[22:23]
	v_mad_u64_u32 v[36:37], null, s9, v36, v[18:19]
	v_mov_b32_e32 v18, v35
	v_add_co_u32 v19, vcc_lo, v38, v19
	v_add_co_ci_u32_e32 v20, vcc_lo, v39, v20, vcc_lo
	v_mad_u64_u32 v[23:24], null, s9, v24, v[18:19]
	v_mov_b32_e32 v33, v36
	v_lshlrev_b64 v[24:25], 3, v[25:26]
	v_add_co_u32 v36, vcc_lo, v38, v21
	v_add_co_ci_u32_e32 v37, vcc_lo, v39, v22, vcc_lo
	v_mov_b32_e32 v35, v23
	v_lshlrev_b64 v[21:22], 3, v[32:33]
	v_add_co_u32 v32, vcc_lo, v38, v24
	v_add_co_ci_u32_e32 v33, vcc_lo, v39, v25, vcc_lo
	v_lshlrev_b64 v[23:24], 3, v[34:35]
	v_add_co_u32 v34, vcc_lo, v38, v21
	v_add_co_ci_u32_e32 v35, vcc_lo, v39, v22, vcc_lo
	v_add_co_u32 v22, vcc_lo, v38, v23
	v_add_co_ci_u32_e32 v23, vcc_lo, v39, v24, vcc_lo
	s_clause 0x7
	global_load_dwordx2 v[26:27], v[9:10], off
	global_load_dwordx2 v[14:15], v[14:15], off
	;; [unrolled: 1-line block ×8, first 2 shown]
.LBB0_7:
	s_or_b32 exec_lo, exec_lo, s15
	s_cbranch_execz .LBB0_9
	s_branch .LBB0_10
.LBB0_8:
                                        ; implicit-def: $vgpr1
                                        ; implicit-def: $vgpr3
                                        ; implicit-def: $vgpr14
                                        ; implicit-def: $vgpr20
                                        ; implicit-def: $vgpr18
                                        ; implicit-def: $vgpr22
                                        ; implicit-def: $vgpr9
                                        ; implicit-def: $vgpr16
                                        ; implicit-def: $vgpr24
                                        ; implicit-def: $vgpr26
                                        ; implicit-def: $vgpr5
                                        ; implicit-def: $vgpr7
                                        ; implicit-def: $vgpr30
                                        ; implicit-def: $vgpr11
                                        ; implicit-def: $vgpr31
.LBB0_9:
	s_waitcnt vmcnt(10)
	v_mad_u64_u32 v[1:2], null, s0, v29, 0
	s_waitcnt vmcnt(8)
	v_mad_u64_u32 v[3:4], null, s8, v28, 0
	v_add_nc_u32_e32 v11, 36, v28
	v_add_nc_u32_e32 v30, 6, v28
	s_waitcnt vmcnt(3)
	v_add_nc_u32_e32 v16, 42, v28
	s_lshl_b64 s[16:17], s[2:3], 3
	v_or_b32_e32 v20, 48, v28
	s_add_u32 s15, s10, s16
	v_mad_u64_u32 v[5:6], null, s1, v29, v[2:3]
	s_waitcnt vmcnt(1)
	v_mad_u64_u32 v[9:10], null, s8, v30, 0
	s_addc_u32 s16, s11, s17
	v_mad_u64_u32 v[14:15], null, s8, v16, 0
	s_waitcnt vmcnt(0)
	v_add_nc_u32_e32 v22, 18, v28
	v_mad_u64_u32 v[6:7], null, s9, v28, v[4:5]
	v_mad_u64_u32 v[7:8], null, s8, v11, 0
	v_mov_b32_e32 v2, v5
	v_mad_u64_u32 v[18:19], null, s8, v22, 0
	v_add_nc_u32_e32 v24, 54, v28
	v_mov_b32_e32 v4, v6
	v_mov_b32_e32 v6, v10
	;; [unrolled: 1-line block ×3, first 2 shown]
	v_lshlrev_b64 v[1:2], 3, v[1:2]
	v_or_b32_e32 v31, 24, v28
	v_lshlrev_b64 v[3:4], 3, v[3:4]
	v_add_nc_u32_e32 v27, 60, v28
	v_mad_u64_u32 v[10:11], null, s9, v11, v[5:6]
	v_mad_u64_u32 v[5:6], null, s9, v30, v[6:7]
	v_add_co_u32 v38, vcc_lo, s15, v1
	v_add_co_ci_u32_e32 v39, vcc_lo, s16, v2, vcc_lo
	v_mov_b32_e32 v8, v10
	v_add_co_u32 v1, vcc_lo, v38, v3
	v_add_co_ci_u32_e32 v2, vcc_lo, v39, v4, vcc_lo
	v_mov_b32_e32 v10, v5
	v_lshlrev_b64 v[4:5], 3, v[7:8]
	v_mov_b32_e32 v3, v15
	v_add_nc_u32_e32 v11, 12, v28
	v_add_nc_u32_e32 v36, 30, v28
	v_mad_u64_u32 v[6:7], null, s9, v16, v[3:4]
	v_lshlrev_b64 v[7:8], 3, v[9:10]
	v_mad_u64_u32 v[9:10], null, s8, v11, 0
	v_add_co_u32 v3, vcc_lo, v38, v4
	v_mad_u64_u32 v[16:17], null, s8, v20, 0
	v_add_co_ci_u32_e32 v4, vcc_lo, v39, v5, vcc_lo
	v_mov_b32_e32 v15, v6
	v_add_co_u32 v5, vcc_lo, v38, v7
	v_mov_b32_e32 v7, v10
	v_add_co_ci_u32_e32 v6, vcc_lo, v39, v8, vcc_lo
	v_lshlrev_b64 v[14:15], 3, v[14:15]
	v_mad_u64_u32 v[32:33], null, s8, v36, 0
	v_mad_u64_u32 v[7:8], null, s9, v11, v[7:8]
	v_mov_b32_e32 v8, v17
	v_add_co_u32 v14, vcc_lo, v38, v14
	v_add_co_ci_u32_e32 v15, vcc_lo, v39, v15, vcc_lo
	v_mad_u64_u32 v[20:21], null, s9, v20, v[8:9]
	v_mov_b32_e32 v10, v7
	s_clause 0x3
	global_load_dwordx2 v[7:8], v[1:2], off
	global_load_dwordx2 v[1:2], v[3:4], off
	;; [unrolled: 1-line block ×4, first 2 shown]
	v_mov_b32_e32 v14, v19
	v_lshlrev_b64 v[9:10], 3, v[9:10]
	v_mov_b32_e32 v17, v20
	v_mad_u64_u32 v[14:15], null, s9, v22, v[14:15]
	v_mad_u64_u32 v[20:21], null, s8, v24, 0
	v_lshlrev_b64 v[15:16], 3, v[16:17]
	v_mad_u64_u32 v[22:23], null, s8, v31, 0
	v_add_co_u32 v9, vcc_lo, v38, v9
	v_mov_b32_e32 v19, v14
	v_mov_b32_e32 v14, v21
	v_add_co_ci_u32_e32 v10, vcc_lo, v39, v10, vcc_lo
	v_lshlrev_b64 v[17:18], 3, v[18:19]
	v_mad_u64_u32 v[24:25], null, s9, v24, v[14:15]
	v_add_co_u32 v14, vcc_lo, v38, v15
	v_mad_u64_u32 v[25:26], null, s8, v27, 0
	v_add_co_ci_u32_e32 v15, vcc_lo, v39, v16, vcc_lo
	v_mov_b32_e32 v16, v23
	v_mov_b32_e32 v21, v24
	v_mad_u64_u32 v[23:24], null, s9, v31, v[16:17]
	v_add_nc_u32_e32 v24, 0x42, v28
	v_mov_b32_e32 v16, v26
	v_lshlrev_b64 v[19:20], 3, v[20:21]
	v_mad_u64_u32 v[34:35], null, s8, v24, 0
	v_mad_u64_u32 v[26:27], null, s9, v27, v[16:17]
	v_add_co_u32 v16, vcc_lo, v38, v17
	v_add_co_ci_u32_e32 v17, vcc_lo, v39, v18, vcc_lo
	v_mov_b32_e32 v18, v33
	v_lshlrev_b64 v[21:22], 3, v[22:23]
	v_mad_u64_u32 v[36:37], null, s9, v36, v[18:19]
	v_mov_b32_e32 v18, v35
	v_add_co_u32 v19, vcc_lo, v38, v19
	v_add_co_ci_u32_e32 v20, vcc_lo, v39, v20, vcc_lo
	v_mad_u64_u32 v[23:24], null, s9, v24, v[18:19]
	v_mov_b32_e32 v33, v36
	v_lshlrev_b64 v[24:25], 3, v[25:26]
	v_add_co_u32 v36, vcc_lo, v38, v21
	v_add_co_ci_u32_e32 v37, vcc_lo, v39, v22, vcc_lo
	v_mov_b32_e32 v35, v23
	v_lshlrev_b64 v[21:22], 3, v[32:33]
	v_add_co_u32 v32, vcc_lo, v38, v24
	v_add_co_ci_u32_e32 v33, vcc_lo, v39, v25, vcc_lo
	v_lshlrev_b64 v[23:24], 3, v[34:35]
	v_add_co_u32 v34, vcc_lo, v38, v21
	v_add_co_ci_u32_e32 v35, vcc_lo, v39, v22, vcc_lo
	v_add_co_u32 v22, vcc_lo, v38, v23
	v_add_co_ci_u32_e32 v23, vcc_lo, v39, v24, vcc_lo
	s_clause 0x7
	global_load_dwordx2 v[26:27], v[9:10], off
	global_load_dwordx2 v[14:15], v[14:15], off
	;; [unrolled: 1-line block ×8, first 2 shown]
.LBB0_10:
	s_waitcnt vmcnt(2)
	v_sub_f32_e32 v35, v17, v19
	v_sub_f32_e32 v1, v7, v1
	;; [unrolled: 1-line block ×5, first 2 shown]
	s_waitcnt vmcnt(0)
	v_sub_f32_e32 v19, v9, v22
	v_lshlrev_b32_e32 v22, 8, v28
	v_lshlrev_b32_e32 v37, 2, v29
	v_sub_f32_e32 v3, v5, v3
	v_fma_f32 v36, v17, 2.0, -v35
	v_sub_f32_e32 v23, v10, v23
	v_lshlrev_b32_e32 v17, 8, v30
	v_fma_f32 v7, v7, 2.0, -v1
	v_sub_f32_e32 v14, v26, v14
	v_fma_f32 v34, v25, 2.0, -v20
	v_add3_u32 v22, 0, v22, v37
	v_lshlrev_b32_e32 v25, 8, v11
	v_fma_f32 v5, v5, 2.0, -v3
	v_fma_f32 v38, v10, 2.0, -v23
	v_add3_u32 v39, 0, v17, v37
	v_lshlrev_b32_e32 v10, 8, v31
	v_fma_f32 v21, v26, 2.0, -v14
	ds_write2_b32 v22, v7, v1 offset1:32
	v_add3_u32 v1, 0, v25, v37
	v_fma_f32 v24, v24, 2.0, -v15
	v_add_nc_u32_e32 v7, 0x1000, v22
	v_sub_f32_e32 v2, v8, v2
	v_sub_f32_e32 v18, v16, v18
	ds_write2_b32 v39, v5, v3 offset1:32
	v_add3_u32 v3, 0, v10, v37
	v_lshlrev_b32_e32 v10, 7, v28
	ds_write2_b32 v1, v21, v14 offset1:32
	ds_write2_b32 v7, v24, v15 offset0:128 offset1:160
	v_lshlrev_b32_e32 v14, 7, v30
	v_lshlrev_b32_e32 v15, 7, v31
	v_sub_f32_e32 v4, v6, v4
	v_fma_f32 v8, v8, 2.0, -v2
	v_fma_f32 v16, v16, 2.0, -v18
	v_sub_nc_u32_e32 v24, v22, v10
	v_lshlrev_b32_e32 v11, 7, v11
	v_bfe_u32 v43, v0, 5, 1
	v_fma_f32 v9, v9, 2.0, -v19
	v_add_nc_u32_e32 v5, 0x1c00, v22
	v_fma_f32 v33, v27, 2.0, -v32
	v_sub_nc_u32_e32 v27, v39, v14
	v_sub_nc_u32_e32 v26, v3, v15
	v_fma_f32 v6, v6, 2.0, -v4
	ds_write2_b32 v3, v16, v18 offset1:32
	ds_write2_b32 v5, v9, v19 offset0:128 offset1:160
	s_waitcnt lgkmcnt(0)
	s_barrier
	buffer_gl0_inv
	ds_read2st64_b32 v[9:10], v24 offset1:9
	v_sub_nc_u32_e32 v25, v1, v11
	ds_read2st64_b32 v[14:15], v24 offset0:15 offset1:18
	ds_read2st64_b32 v[16:17], v24 offset0:21 offset1:24
	;; [unrolled: 1-line block ×3, first 2 shown]
	ds_read_b32 v11, v27
	ds_read_b32 v40, v26
	;; [unrolled: 1-line block ×3, first 2 shown]
	ds_read_b32 v42, v24 offset:8448
	s_waitcnt lgkmcnt(0)
	s_barrier
	buffer_gl0_inv
	ds_write2_b32 v22, v8, v2 offset1:32
	v_mul_u32_u24_e32 v2, 5, v43
	ds_write2_b32 v39, v6, v4 offset1:32
	ds_write2_b32 v1, v33, v32 offset1:32
	ds_write2_b32 v7, v34, v20 offset0:128 offset1:160
	ds_write2_b32 v3, v36, v35 offset1:32
	ds_write2_b32 v5, v38, v23 offset0:128 offset1:160
	s_waitcnt lgkmcnt(0)
	s_barrier
	v_lshlrev_b32_e32 v20, 3, v2
	buffer_gl0_inv
	s_clause 0x2
	global_load_dwordx4 v[1:4], v20, s[6:7]
	global_load_dwordx4 v[5:8], v20, s[6:7] offset:16
	global_load_dwordx2 v[20:21], v20, s[6:7] offset:32
	v_lshrrev_b32_e32 v22, 1, v30
	v_lshrrev_b32_e32 v0, 6, v0
	ds_read_b32 v38, v25
	v_cmp_gt_u64_e32 vcc_lo, s[12:13], v[12:13]
	v_mul_lo_u32 v35, v22, 12
	v_mul_u32_u24_e32 v0, 12, v0
	ds_read_b32 v39, v26
	ds_read2st64_b32 v[22:23], v24 offset0:15 offset1:18
	ds_read2st64_b32 v[31:32], v24 offset0:21 offset1:24
	;; [unrolled: 1-line block ×3, first 2 shown]
	s_or_b32 s12, s14, vcc_lo
	v_or_b32_e32 v0, v0, v43
	v_or_b32_e32 v43, v35, v43
	ds_read2st64_b32 v[35:36], v24 offset1:9
	ds_read_b32 v44, v27
	ds_read_b32 v45, v24 offset:8448
	s_waitcnt vmcnt(0) lgkmcnt(0)
	v_lshlrev_b32_e32 v0, 7, v0
	s_barrier
	v_lshlrev_b32_e32 v43, 7, v43
	buffer_gl0_inv
	v_add3_u32 v0, 0, v0, v37
	v_add3_u32 v43, 0, v43, v37
	v_mul_f32_e32 v37, v38, v2
	v_mul_f32_e32 v50, v15, v6
	;; [unrolled: 1-line block ×20, first 2 shown]
	v_fmac_f32_e32 v50, v23, v5
	v_fmac_f32_e32 v54, v34, v20
	v_fma_f32 v15, v15, v5, -v49
	v_fma_f32 v19, v19, v20, -v53
	;; [unrolled: 1-line block ×3, first 2 shown]
	v_fmac_f32_e32 v46, v38, v1
	v_fma_f32 v38, v40, v3, -v47
	v_fmac_f32_e32 v48, v39, v3
	v_fmac_f32_e32 v52, v32, v7
	;; [unrolled: 1-line block ×5, first 2 shown]
	v_fma_f32 v10, v10, v1, -v55
	v_fmac_f32_e32 v4, v22, v3
	v_fma_f32 v1, v16, v5, -v57
	v_fmac_f32_e32 v8, v33, v7
	v_fma_f32 v5, v42, v20, -v59
	v_fma_f32 v14, v14, v3, -v56
	;; [unrolled: 1-line block ×3, first 2 shown]
	v_add_f32_e32 v36, v50, v54
	v_add_f32_e32 v32, v15, v19
	v_fma_f32 v3, v18, v7, -v58
	v_add_f32_e32 v7, v9, v38
	v_sub_f32_e32 v18, v48, v52
	v_add_f32_e32 v20, v35, v48
	v_add_f32_e32 v22, v48, v52
	;; [unrolled: 1-line block ×3, first 2 shown]
	v_sub_f32_e32 v47, v6, v21
	v_add_f32_e32 v48, v2, v6
	v_add_f32_e32 v6, v6, v21
	v_sub_f32_e32 v40, v4, v8
	v_add_f32_e32 v41, v44, v4
	v_add_f32_e32 v4, v4, v8
	;; [unrolled: 1-line block ×4, first 2 shown]
	v_sub_f32_e32 v23, v38, v17
	v_add_f32_e32 v34, v46, v50
	v_sub_f32_e32 v15, v15, v19
	v_add_f32_e32 v38, v11, v14
	v_add_f32_e32 v42, v10, v1
	v_fmac_f32_e32 v46, -0.5, v36
	v_sub_f32_e32 v33, v50, v54
	v_fmac_f32_e32 v37, -0.5, v32
	v_sub_f32_e32 v1, v1, v5
	v_add_f32_e32 v7, v7, v17
	v_add_f32_e32 v17, v31, v19
	v_fmac_f32_e32 v2, -0.5, v6
	v_add_f32_e32 v39, v14, v3
	v_sub_f32_e32 v14, v14, v3
	v_fmac_f32_e32 v44, -0.5, v4
	v_fmac_f32_e32 v10, -0.5, v45
	v_add_f32_e32 v3, v38, v3
	v_add_f32_e32 v4, v42, v5
	;; [unrolled: 1-line block ×3, first 2 shown]
	v_fmamk_f32 v21, v15, 0xbf5db3d7, v46
	v_fmac_f32_e32 v9, -0.5, v16
	v_add_f32_e32 v16, v20, v52
	v_fmac_f32_e32 v35, -0.5, v22
	v_add_f32_e32 v19, v34, v54
	v_fmamk_f32 v20, v33, 0x3f5db3d7, v37
	v_fmac_f32_e32 v37, 0xbf5db3d7, v33
	v_fmac_f32_e32 v46, 0x3f5db3d7, v15
	v_add_f32_e32 v15, v7, v17
	v_sub_f32_e32 v7, v7, v17
	v_fmamk_f32 v17, v1, 0xbf5db3d7, v2
	v_fmamk_f32 v32, v14, 0xbf5db3d7, v44
	v_fmac_f32_e32 v44, 0x3f5db3d7, v14
	v_fmamk_f32 v14, v47, 0x3f5db3d7, v10
	v_fmac_f32_e32 v10, 0xbf5db3d7, v47
	v_fmac_f32_e32 v2, 0x3f5db3d7, v1
	v_add_f32_e32 v1, v3, v4
	v_sub_f32_e32 v3, v3, v4
	v_mul_f32_e32 v4, 0x3f5db3d7, v21
	v_fmac_f32_e32 v11, -0.5, v39
	v_fmamk_f32 v6, v18, 0x3f5db3d7, v9
	v_fmac_f32_e32 v9, 0xbf5db3d7, v18
	v_fmamk_f32 v18, v23, 0xbf5db3d7, v35
	v_fmac_f32_e32 v35, 0x3f5db3d7, v23
	v_add_f32_e32 v22, v16, v19
	v_sub_f32_e32 v23, v16, v19
	v_mul_f32_e32 v19, -0.5, v37
	v_mul_f32_e32 v36, 0x3f5db3d7, v17
	v_mul_f32_e32 v38, -0.5, v10
	v_mul_f32_e32 v31, 0xbf5db3d7, v20
	v_mul_f32_e32 v33, -0.5, v46
	v_fmac_f32_e32 v4, 0.5, v20
	v_fmamk_f32 v16, v40, 0x3f5db3d7, v11
	v_fmac_f32_e32 v11, 0xbf5db3d7, v40
	v_mul_f32_e32 v40, -0.5, v2
	v_fmac_f32_e32 v19, 0x3f5db3d7, v46
	v_fmac_f32_e32 v36, 0.5, v14
	v_mul_f32_e32 v39, 0xbf5db3d7, v14
	v_fmac_f32_e32 v38, 0x3f5db3d7, v2
	v_fmac_f32_e32 v31, 0.5, v21
	v_fmac_f32_e32 v33, 0xbf5db3d7, v37
	v_add_f32_e32 v2, v6, v4
	v_fmac_f32_e32 v40, 0xbf5db3d7, v10
	v_add_f32_e32 v10, v9, v19
	v_sub_f32_e32 v4, v6, v4
	v_sub_f32_e32 v6, v9, v19
	v_add_f32_e32 v14, v16, v36
	v_fmac_f32_e32 v39, 0.5, v17
	v_add_f32_e32 v17, v11, v38
	v_sub_f32_e32 v16, v16, v36
	v_add_f32_e32 v8, v41, v8
	v_add_f32_e32 v41, v18, v31
	;; [unrolled: 1-line block ×3, first 2 shown]
	v_sub_f32_e32 v9, v18, v31
	v_sub_f32_e32 v35, v35, v33
	;; [unrolled: 1-line block ×3, first 2 shown]
	ds_write2st64_b32 v0, v15, v2 offset1:1
	ds_write2st64_b32 v0, v10, v7 offset0:2 offset1:3
	ds_write2st64_b32 v0, v4, v6 offset0:4 offset1:5
	ds_write2st64_b32 v43, v1, v14 offset1:1
	ds_write2st64_b32 v43, v17, v3 offset0:2 offset1:3
	ds_write2st64_b32 v43, v16, v11 offset0:4 offset1:5
	s_waitcnt lgkmcnt(0)
	s_barrier
	buffer_gl0_inv
	ds_read2st64_b32 v[14:15], v24 offset1:9
	ds_read2st64_b32 v[16:17], v24 offset0:15 offset1:18
	ds_read2st64_b32 v[20:21], v24 offset0:21 offset1:24
	;; [unrolled: 1-line block ×3, first 2 shown]
	ds_read_b32 v31, v27
	ds_read_b32 v38, v26
	;; [unrolled: 1-line block ×3, first 2 shown]
	ds_read_b32 v33, v24 offset:8448
	v_add_f32_e32 v34, v8, v5
	v_add_f32_e32 v1, v32, v39
	;; [unrolled: 1-line block ×3, first 2 shown]
	v_sub_f32_e32 v3, v8, v5
	v_sub_f32_e32 v4, v32, v39
	;; [unrolled: 1-line block ×3, first 2 shown]
	s_waitcnt lgkmcnt(0)
	s_barrier
	buffer_gl0_inv
	ds_write2st64_b32 v0, v22, v41 offset1:1
	ds_write2st64_b32 v0, v42, v23 offset0:2 offset1:3
	ds_write2st64_b32 v0, v9, v35 offset0:4 offset1:5
	ds_write2st64_b32 v43, v34, v1 offset1:1
	ds_write2st64_b32 v43, v2, v3 offset0:2 offset1:3
	ds_write2st64_b32 v43, v4, v5 offset0:4 offset1:5
	s_waitcnt lgkmcnt(0)
	s_barrier
	buffer_gl0_inv
	s_and_saveexec_b32 s13, s12
	s_cbranch_execz .LBB0_12
; %bb.11:
	v_mul_u32_u24_e32 v0, 5, v28
	v_and_b32_e32 v8, 0xff, v30
	v_add_nc_u32_e32 v32, 60, v28
	s_load_dwordx2 s[4:5], s[4:5], 0x8
	v_or_b32_e32 v34, 48, v28
	v_lshlrev_b32_e32 v43, 3, v0
	v_mul_lo_u16 v8, 0xab, v8
	v_mul_lo_u32 v44, v12, v32
	v_add_nc_u32_e32 v35, 36, v28
	v_mov_b32_e32 v41, 3
	s_clause 0x1
	global_load_dwordx4 v[4:7], v43, s[6:7] offset:80
	global_load_dwordx4 v[0:3], v43, s[6:7] offset:96
	v_lshrrev_b16 v13, 11, v8
	ds_read2st64_b32 v[22:23], v24 offset0:21 offset1:24
	v_mul_lo_u32 v65, v12, v35
	v_or_b32_e32 v36, 24, v28
	v_bfe_u32 v47, v44, 8, 8
	v_mul_lo_u16 v8, v13, 12
	ds_read_b32 v27, v27
	v_add_nc_u32_e32 v39, 12, v28
	v_mul_lo_u32 v67, v12, v36
	v_lshl_or_b32 v47, v47, 3, 0x800
	v_sub_nc_u16 v8, v30, v8
	v_bfe_u32 v50, v65, 8, 8
	v_mul_lo_u32 v68, v12, v39
	v_lshlrev_b32_sdwa v55, v41, v65 dst_sel:DWORD dst_unused:UNUSED_PAD src0_sel:DWORD src1_sel:BYTE_0
	v_mul_lo_u32 v80, v12, v28
	v_and_b32_e32 v40, 0xff, v8
	v_lshl_or_b32 v57, v50, 3, 0x800
	v_bfe_u32 v59, v67, 8, 8
	v_lshlrev_b32_sdwa v60, v41, v67 dst_sel:DWORD dst_unused:UNUSED_PAD src0_sel:DWORD src1_sel:BYTE_0
	v_and_b32_e32 v13, 0xffff, v13
	v_mul_u32_u24_e32 v8, 5, v40
	v_bfe_u32 v64, v68, 8, 8
	v_lshl_or_b32 v61, v59, 3, 0x800
	v_lshlrev_b32_sdwa v70, v41, v68 dst_sel:DWORD dst_unused:UNUSED_PAD src0_sel:DWORD src1_sel:BYTE_0
	v_mad_u32_u24 v13, v13, 60, v30
	v_lshlrev_b32_e32 v42, 3, v8
	global_load_dwordx2 v[45:46], v43, s[6:7] offset:112
	v_mul_lo_u32 v43, v12, v34
	global_load_dwordx4 v[8:11], v42, s[6:7] offset:96
	ds_read_b32 v63, v26
	ds_read_b32 v66, v25
	v_lshlrev_b32_sdwa v25, v41, v44 dst_sel:DWORD dst_unused:UNUSED_PAD src0_sel:DWORD src1_sel:BYTE_0
	s_waitcnt lgkmcnt(0)
	s_clause 0x1
	global_load_dwordx2 v[25:26], v25, s[4:5]
	global_load_dwordx2 v[47:48], v47, s[4:5]
	v_bfe_u32 v49, v43, 8, 8
	v_lshlrev_b32_sdwa v51, v41, v43 dst_sel:DWORD dst_unused:UNUSED_PAD src0_sel:DWORD src1_sel:BYTE_0
	v_lshl_or_b32 v52, v49, 3, 0x800
	s_clause 0x1
	global_load_dwordx2 v[49:50], v51, s[4:5]
	global_load_dwordx2 v[51:52], v52, s[4:5]
	ds_read2st64_b32 v[53:54], v24 offset0:15 offset1:18
	s_clause 0x1
	global_load_dwordx2 v[55:56], v55, s[4:5]
	global_load_dwordx2 v[57:58], v57, s[4:5]
	ds_read_b32 v69, v24 offset:8448
	s_clause 0x1
	global_load_dwordx2 v[59:60], v60, s[4:5]
	global_load_dwordx2 v[61:62], v61, s[4:5]
	s_waitcnt vmcnt(11)
	v_mul_f32_e32 v71, v63, v7
	v_mul_f32_e32 v72, v38, v7
	v_lshl_or_b32 v7, v64, 3, 0x800
	v_mul_f32_e32 v73, v66, v5
	v_mul_f32_e32 v74, v37, v5
	v_fma_f32 v71, v38, v6, -v71
	v_fmac_f32_e32 v72, v63, v6
	s_clause 0x1
	global_load_dwordx2 v[5:6], v70, s[4:5]
	global_load_dwordx2 v[63:64], v7, s[4:5]
	v_fma_f32 v70, v37, v4, -v73
	s_waitcnt vmcnt(12)
	v_mul_f32_e32 v7, v23, v3
	v_fmac_f32_e32 v74, v66, v4
	v_mul_f32_e32 v66, v21, v3
	s_waitcnt lgkmcnt(1)
	v_mul_f32_e32 v3, v54, v1
	v_mul_f32_e32 v73, v17, v1
	v_fma_f32 v75, v21, v2, -v7
	v_add_nc_u32_e32 v37, 60, v40
	v_fmac_f32_e32 v66, v23, v2
	v_fma_f32 v76, v17, v0, -v3
	v_fmac_f32_e32 v73, v54, v0
	global_load_dwordx4 v[0:3], v42, s[6:7] offset:80
	v_bfe_u32 v17, v65, 16, 8
	s_waitcnt vmcnt(11)
	v_mul_f32_e32 v4, v22, v9
	v_mul_f32_e32 v54, v20, v9
	;; [unrolled: 1-line block ×3, first 2 shown]
	v_bfe_u32 v9, v43, 16, 8
	v_fma_f32 v77, v20, v8, -v4
	ds_read2st64_b32 v[20:21], v24 offset0:27 offset1:30
	v_fmac_f32_e32 v54, v22, v8
	v_lshl_or_b32 v9, v9, 3, 0x1000
	v_bfe_u32 v22, v68, 16, 8
	ds_read2st64_b32 v[7:8], v24 offset1:9
	s_waitcnt lgkmcnt(1)
	v_mul_f32_e32 v4, v20, v11
	v_fmac_f32_e32 v78, v20, v10
	v_bfe_u32 v11, v44, 16, 8
	v_bfe_u32 v20, v67, 16, 8
	v_mul_f32_e32 v67, v19, v46
	v_fma_f32 v79, v18, v10, -v4
	v_mul_f32_e32 v10, v21, v46
	v_lshl_or_b32 v11, v11, 3, 0x1000
	v_bfe_u32 v4, v80, 16, 8
	v_fmac_f32_e32 v67, v21, v45
	v_lshl_or_b32 v21, v20, 3, 0x1000
	v_fma_f32 v65, v19, v45, -v10
	v_lshl_or_b32 v19, v17, 3, 0x1000
	s_clause 0x1
	global_load_dwordx2 v[9:10], v9, s[4:5]
	global_load_dwordx2 v[17:18], v11, s[4:5]
	v_lshl_or_b32 v4, v4, 3, 0x1000
	v_mul_lo_u32 v44, v12, v37
	global_load_dwordx2 v[19:20], v19, s[4:5]
	s_waitcnt vmcnt(12)
	v_mul_f32_e32 v11, v26, v48
	v_mul_f32_e32 v48, v25, v48
	global_load_dwordx2 v[23:24], v4, s[4:5]
	s_waitcnt vmcnt(7)
	v_mul_f32_e32 v4, v60, v62
	v_fma_f32 v68, v25, v47, -v11
	v_mul_f32_e32 v11, v50, v52
	v_fmac_f32_e32 v48, v26, v47
	v_mul_f32_e32 v47, v49, v52
	v_mul_f32_e32 v26, v56, v58
	v_lshl_or_b32 v25, v22, 3, 0x1000
	v_fma_f32 v49, v49, v51, -v11
	v_mul_lo_u32 v11, v12, v40
	v_fmac_f32_e32 v47, v50, v51
	v_mul_f32_e32 v50, v55, v58
	v_fma_f32 v51, v55, v57, -v26
	v_fma_f32 v55, v59, v61, -v4
	s_clause 0x1
	global_load_dwordx2 v[21:22], v21, s[4:5]
	global_load_dwordx2 v[25:26], v25, s[4:5]
	v_fmac_f32_e32 v50, v56, v57
	v_bfe_u32 v38, v11, 8, 8
	v_lshlrev_b32_sdwa v43, v41, v11 dst_sel:DWORD dst_unused:UNUSED_PAD src0_sel:DWORD src1_sel:BYTE_0
	v_mul_f32_e32 v52, v59, v62
	v_lshl_or_b32 v38, v38, 3, 0x800
	v_fmac_f32_e32 v52, v60, v61
	s_waitcnt vmcnt(7)
	v_mul_f32_e32 v4, v6, v64
	v_mul_f32_e32 v56, v5, v64
	v_fma_f32 v57, v5, v63, -v4
	s_clause 0x1
	global_load_dwordx2 v[4:5], v43, s[4:5]
	global_load_dwordx2 v[37:38], v38, s[4:5]
	v_fmac_f32_e32 v56, v6, v63
	s_waitcnt vmcnt(8)
	v_mul_f32_e32 v6, v53, v3
	v_mul_f32_e32 v58, v16, v3
	v_bfe_u32 v3, v44, 8, 8
	v_mul_f32_e32 v60, v15, v1
	v_fma_f32 v59, v16, v2, -v6
	s_waitcnt lgkmcnt(0)
	v_mul_f32_e32 v6, v8, v1
	v_lshlrev_b32_sdwa v1, v41, v44 dst_sel:DWORD dst_unused:UNUSED_PAD src0_sel:DWORD src1_sel:BYTE_0
	v_fmac_f32_e32 v58, v53, v2
	v_lshl_or_b32 v2, v3, 3, 0x800
	v_fmac_f32_e32 v60, v8, v0
	v_fma_f32 v53, v15, v0, -v6
	s_clause 0x1
	global_load_dwordx2 v[0:1], v1, s[4:5]
	global_load_dwordx2 v[2:3], v2, s[4:5]
	v_or_b32_e32 v6, 48, v40
	v_mul_lo_u32 v6, v12, v6
	s_waitcnt vmcnt(2)
	v_mul_f32_e32 v8, v5, v38
	v_mul_f32_e32 v61, v4, v38
	v_fma_f32 v62, v4, v37, -v8
	v_bfe_u32 v4, v6, 16, 8
	v_fmac_f32_e32 v61, v5, v37
	v_bfe_u32 v5, v44, 16, 8
	v_lshl_or_b32 v4, v4, 3, 0x1000
	v_lshl_or_b32 v8, v5, 3, 0x1000
	s_clause 0x1
	global_load_dwordx2 v[4:5], v4, s[4:5]
	global_load_dwordx2 v[15:16], v8, s[4:5]
	s_waitcnt vmcnt(2)
	v_mul_f32_e32 v8, v1, v3
	v_mul_f32_e32 v64, v0, v3
	v_fma_f32 v63, v0, v2, -v8
	v_add_nc_u32_e32 v0, 36, v40
	v_fmac_f32_e32 v64, v1, v2
	v_lshlrev_b32_sdwa v2, v41, v6 dst_sel:DWORD dst_unused:UNUSED_PAD src0_sel:DWORD src1_sel:BYTE_0
	v_mul_lo_u32 v8, v12, v0
	v_bfe_u32 v0, v6, 8, 8
	v_lshl_or_b32 v3, v0, 3, 0x800
	v_bfe_u32 v1, v8, 16, 8
	v_lshl_or_b32 v6, v1, 3, 0x1000
	s_clause 0x2
	global_load_dwordx2 v[0:1], v2, s[4:5]
	global_load_dwordx2 v[2:3], v3, s[4:5]
	global_load_dwordx2 v[37:38], v6, s[4:5]
	s_waitcnt vmcnt(1)
	v_mul_f32_e32 v6, v1, v3
	v_mul_f32_e32 v82, v0, v3
	v_fma_f32 v81, v0, v2, -v6
	v_add_nc_u32_e32 v0, 24, v40
	v_fmac_f32_e32 v82, v1, v2
	v_lshlrev_b32_sdwa v1, v41, v8 dst_sel:DWORD dst_unused:UNUSED_PAD src0_sel:DWORD src1_sel:BYTE_0
	v_mul_lo_u32 v6, v12, v0
	v_bfe_u32 v0, v8, 8, 8
	v_lshl_or_b32 v2, v0, 3, 0x800
	v_bfe_u32 v0, v6, 8, 8
	v_lshl_or_b32 v8, v0, 3, 0x800
	;; [unrolled: 2-line block ×3, first 2 shown]
	s_clause 0x3
	global_load_dwordx2 v[0:1], v1, s[4:5]
	global_load_dwordx2 v[2:3], v2, s[4:5]
	;; [unrolled: 1-line block ×4, first 2 shown]
	s_waitcnt vmcnt(2)
	v_mul_f32_e32 v8, v1, v3
	v_mul_f32_e32 v84, v0, v3
	v_fma_f32 v83, v0, v2, -v8
	v_lshlrev_b32_sdwa v0, v41, v6 dst_sel:DWORD dst_unused:UNUSED_PAD src0_sel:DWORD src1_sel:BYTE_0
	v_fmac_f32_e32 v84, v1, v2
	global_load_dwordx2 v[0:1], v0, s[4:5]
	s_waitcnt vmcnt(0)
	v_mul_f32_e32 v2, v1, v44
	v_mul_f32_e32 v86, v0, v44
	v_fma_f32 v85, v0, v43, -v2
	v_add_nc_u32_e32 v0, 12, v40
	v_fmac_f32_e32 v86, v1, v43
	v_bfe_u32 v1, v11, 16, 8
	v_mul_lo_u32 v0, v12, v0
	v_lshl_or_b32 v6, v1, 3, 0x1000
	v_bfe_u32 v2, v0, 8, 8
	v_bfe_u32 v3, v0, 16, 8
	v_lshlrev_b32_sdwa v0, v41, v0 dst_sel:DWORD dst_unused:UNUSED_PAD src0_sel:DWORD src1_sel:BYTE_0
	v_lshl_or_b32 v2, v2, 3, 0x800
	v_lshl_or_b32 v8, v3, 3, 0x1000
	s_clause 0x3
	global_load_dwordx2 v[0:1], v0, s[4:5]
	global_load_dwordx2 v[2:3], v2, s[4:5]
	global_load_dwordx2 v[11:12], v6, s[4:5]
	global_load_dwordx2 v[43:44], v8, s[4:5]
	v_mul_f32_e32 v8, v51, v20
	v_fmac_f32_e32 v8, v19, v50
	s_waitcnt vmcnt(2)
	v_mul_f32_e32 v6, v1, v3
	v_mul_f32_e32 v87, v0, v3
	v_fma_f32 v40, v0, v2, -v6
	v_mul_f32_e32 v0, v48, v18
	v_fmac_f32_e32 v87, v1, v2
	v_mul_f32_e32 v2, v68, v18
	v_sub_f32_e32 v18, v72, v66
	v_fma_f32 v6, v17, v68, -v0
	v_mul_f32_e32 v0, v47, v10
	v_fmac_f32_e32 v2, v17, v48
	v_mul_f32_e32 v10, v49, v10
	v_fma_f32 v48, v9, v49, -v0
	v_mul_f32_e32 v0, v50, v20
	v_fmac_f32_e32 v10, v9, v47
	v_sub_f32_e32 v20, v73, v67
	v_fma_f32 v3, v19, v51, -v0
	v_mul_f32_e32 v0, v52, v22
	v_mul_f32_e32 v19, v55, v22
	v_fma_f32 v47, v21, v55, -v0
	global_load_dwordx2 v[0:1], v42, s[6:7] offset:112
	v_fmac_f32_e32 v19, v21, v52
	v_sub_f32_e32 v52, v71, v75
	s_waitcnt vmcnt(0)
	v_mul_f32_e32 v9, v69, v1
	v_mul_f32_e32 v22, v33, v1
	v_add_f32_e32 v1, v71, v75
	v_fma_f32 v21, v33, v0, -v9
	v_fmac_f32_e32 v22, v69, v0
	v_add_f32_e32 v0, v72, v66
	v_fma_f32 v17, -0.5, v1, v14
	v_add_f32_e32 v1, v14, v71
	v_add_f32_e32 v14, v73, v67
	v_fma_f32 v33, -0.5, v0, v7
	v_add_f32_e32 v0, v7, v72
	v_add_f32_e32 v7, v74, v73
	;; [unrolled: 1-line block ×3, first 2 shown]
	v_fma_f32 v14, -0.5, v14, v74
	v_fmamk_f32 v68, v18, 0xbf5db3d7, v17
	v_add_f32_e32 v42, v0, v66
	v_add_f32_e32 v49, v7, v67
	v_add_f32_e32 v0, v70, v76
	v_fmamk_f32 v67, v52, 0x3f5db3d7, v33
	v_fmac_f32_e32 v33, 0xbf5db3d7, v52
	v_fmac_f32_e32 v17, 0x3f5db3d7, v18
	v_sub_f32_e32 v7, v42, v49
	v_add_f32_e32 v51, v0, v65
	v_mul_f32_e32 v9, v7, v8
	v_sub_f32_e32 v0, v50, v51
	v_mul_f32_e32 v1, v0, v8
	v_fma_f32 v0, v0, v3, -v9
	v_add_f32_e32 v8, v76, v65
	v_sub_f32_e32 v9, v76, v65
	v_fmac_f32_e32 v1, v7, v3
	v_fma_f32 v55, -0.5, v8, v70
	v_fmamk_f32 v8, v9, 0x3f5db3d7, v14
	v_fmac_f32_e32 v14, 0xbf5db3d7, v9
	v_bfe_u32 v9, v80, 8, 8
	v_fmamk_f32 v3, v20, 0xbf5db3d7, v55
	v_mul_f32_e32 v65, -0.5, v8
	v_fmac_f32_e32 v55, 0x3f5db3d7, v20
	v_lshl_or_b32 v9, v9, 3, 0x800
	v_mul_f32_e32 v66, -0.5, v3
	v_fmac_f32_e32 v65, 0xbf5db3d7, v3
	v_fmac_f32_e32 v66, 0x3f5db3d7, v8
	v_sub_f32_e32 v7, v67, v65
	v_add_f32_e32 v52, v67, v65
	v_sub_f32_e32 v8, v68, v66
	v_mul_f32_e32 v69, v7, v2
	v_add_f32_e32 v65, v68, v66
	v_mul_f32_e32 v3, v8, v2
	v_fma_f32 v2, v8, v6, -v69
	v_lshlrev_b32_sdwa v8, v41, v80 dst_sel:DWORD dst_unused:UNUSED_PAD src0_sel:DWORD src1_sel:BYTE_0
	v_mul_f32_e32 v41, 0xbf5db3d7, v55
	v_fmac_f32_e32 v3, v7, v6
	s_clause 0x1
	global_load_dwordx2 v[6:7], v8, s[4:5]
	global_load_dwordx2 v[8:9], v9, s[4:5]
	v_fmac_f32_e32 v41, 0.5, v14
	v_mul_f32_e32 v14, 0x3f5db3d7, v14
	v_sub_f32_e32 v20, v33, v41
	v_fmac_f32_e32 v14, 0.5, v55
	v_mul_f32_e32 v66, v20, v10
	v_sub_f32_e32 v55, v17, v14
	v_add_f32_e32 v67, v17, v14
	v_add_f32_e32 v14, v58, v78
	v_mul_f32_e32 v18, v55, v10
	v_mul_f32_e32 v10, v52, v19
	v_fma_f32 v17, v55, v48, -v66
	v_fma_f32 v14, -0.5, v14, v27
	v_fmac_f32_e32 v18, v20, v48
	v_mul_f32_e32 v20, v65, v19
	v_fma_f32 v19, v65, v47, -v10
	v_add_f32_e32 v10, v54, v22
	v_add_f32_e32 v48, v27, v58
	;; [unrolled: 1-line block ×4, first 2 shown]
	v_sub_f32_e32 v54, v54, v22
	v_fma_f32 v10, -0.5, v10, v60
	v_add_f32_e32 v60, v59, v79
	v_add_f32_e32 v22, v27, v22
	;; [unrolled: 1-line block ×3, first 2 shown]
	v_fma_f32 v65, -0.5, v65, v53
	v_add_f32_e32 v53, v53, v77
	v_fma_f32 v31, -0.5, v60, v31
	v_mul_f32_e32 v60, v57, v26
	v_add_f32_e32 v48, v48, v78
	v_add_f32_e32 v27, v27, v79
	v_sub_f32_e32 v58, v58, v78
	v_fmac_f32_e32 v20, v52, v47
	v_fmac_f32_e32 v60, v25, v56
	v_mul_f32_e32 v56, v56, v26
	v_mul_f32_e32 v26, v61, v12
	;; [unrolled: 1-line block ×3, first 2 shown]
	v_sub_f32_e32 v59, v59, v79
	v_fma_f32 v26, v11, v62, -v26
	v_fmac_f32_e32 v12, v11, v61
	v_mul_f32_e32 v11, v64, v16
	v_mul_f32_e32 v16, v63, v16
	v_fmamk_f32 v47, v59, 0x3f5db3d7, v14
	v_fmac_f32_e32 v14, 0xbf5db3d7, v59
	v_mul_f32_e32 v59, v87, v44
	v_fma_f32 v11, v15, v63, -v11
	v_fmac_f32_e32 v16, v15, v64
	v_mul_f32_e32 v15, v86, v46
	v_mul_f32_e32 v46, v85, v46
	;; [unrolled: 1-line block ×3, first 2 shown]
	v_fma_f32 v40, v43, v40, -v59
	v_fmac_f32_e32 v46, v45, v86
	v_fmac_f32_e32 v44, v43, v87
	s_waitcnt vmcnt(0)
	v_mul_f32_e32 v55, v7, v9
	v_mul_f32_e32 v66, v6, v9
	v_sub_f32_e32 v9, v77, v21
	v_add_f32_e32 v21, v53, v21
	v_fmamk_f32 v53, v58, 0xbf5db3d7, v31
	v_fmac_f32_e32 v31, 0x3f5db3d7, v58
	v_mul_f32_e32 v58, v81, v5
	v_fmamk_f32 v52, v9, 0x3f5db3d7, v10
	v_fmac_f32_e32 v10, 0xbf5db3d7, v9
	v_fmamk_f32 v9, v54, 0xbf5db3d7, v65
	v_fmac_f32_e32 v65, 0x3f5db3d7, v54
	v_sub_f32_e32 v54, v48, v22
	v_add_f32_e32 v22, v48, v22
	v_sub_f32_e32 v48, v27, v21
	v_add_f32_e32 v21, v27, v21
	v_mul_f32_e32 v27, v82, v5
	v_mul_f32_e32 v5, v84, v38
	;; [unrolled: 1-line block ×3, first 2 shown]
	v_mul_f32_e32 v62, -0.5, v9
	v_mul_f32_e32 v63, 0xbf5db3d7, v65
	v_fma_f32 v61, v4, v81, -v27
	v_mul_f32_e32 v27, -0.5, v52
	v_mul_f32_e32 v68, 0x3f5db3d7, v10
	v_fmac_f32_e32 v58, v4, v82
	v_fma_f32 v64, v37, v83, -v5
	v_fmac_f32_e32 v38, v37, v84
	v_mul_f32_e32 v5, v21, v12
	v_mul_f32_e32 v4, v22, v12
	v_fmac_f32_e32 v27, 0xbf5db3d7, v9
	v_fmac_f32_e32 v62, 0x3f5db3d7, v52
	v_fmac_f32_e32 v63, 0.5, v10
	v_fmac_f32_e32 v68, 0.5, v65
	v_fma_f32 v37, v45, v85, -v15
	v_fmac_f32_e32 v5, v22, v26
	v_fma_f32 v4, v21, v26, -v4
	v_mul_f32_e32 v10, v48, v38
	v_mul_f32_e32 v9, v54, v38
	v_sub_f32_e32 v21, v47, v27
	v_add_f32_e32 v26, v47, v27
	v_sub_f32_e32 v38, v53, v62
	v_add_f32_e32 v43, v53, v62
	;; [unrolled: 2-line block ×4, first 2 shown]
	v_mul_f32_e32 v12, v38, v16
	v_mul_f32_e32 v16, v21, v16
	;; [unrolled: 1-line block ×3, first 2 shown]
	v_fmac_f32_e32 v66, v7, v8
	v_mul_f32_e32 v27, v31, v44
	v_mul_f32_e32 v44, v47, v44
	v_fma_f32 v6, v6, v8, -v55
	v_mul_f32_e32 v46, v26, v46
	v_fmac_f32_e32 v12, v21, v11
	v_fma_f32 v11, v38, v11, -v16
	v_fmac_f32_e32 v22, v26, v37
	v_fma_f32 v26, v31, v40, -v44
	v_add_f32_e32 v16, v33, v41
	v_fma_f32 v31, v25, v57, -v56
	v_mul_f32_e32 v8, v66, v24
	v_mul_f32_e32 v33, v6, v24
	v_mad_u64_u32 v[24:25], null, s0, v29, 0
	v_fma_f32 v21, v43, v37, -v46
	v_mad_u64_u32 v[37:38], null, s8, v28, 0
	v_mul_f32_e32 v15, v14, v58
	v_mul_f32_e32 v7, v67, v60
	v_fmac_f32_e32 v33, v23, v66
	v_fma_f32 v23, v23, v6, -v8
	v_mov_b32_e32 v6, v25
	v_fma_f32 v9, v48, v64, -v9
	v_mul_f32_e32 v48, v45, v58
	v_fmac_f32_e32 v15, v45, v61
	v_add_f32_e32 v45, v42, v49
	v_mad_u64_u32 v[42:43], null, s1, v29, v[6:7]
	v_mov_b32_e32 v8, v38
	v_mad_u64_u32 v[43:44], null, s8, v39, 0
	v_fmac_f32_e32 v27, v47, v40
	v_add_f32_e32 v40, v50, v51
	v_mul_f32_e32 v25, v45, v33
	v_mad_u64_u32 v[28:29], null, s9, v28, v[8:9]
	v_mul_f32_e32 v46, v16, v60
	v_mov_b32_e32 v8, v44
	v_mul_f32_e32 v41, v40, v33
	v_fma_f32 v40, v40, v23, -v25
	v_mov_b32_e32 v25, v42
	v_fma_f32 v6, v67, v31, -v46
	v_mov_b32_e32 v38, v28
	v_mad_u64_u32 v[28:29], null, s9, v39, v[8:9]
	v_fmac_f32_e32 v41, v45, v23
	v_lshlrev_b64 v[23:24], 3, v[24:25]
	v_mad_u64_u32 v[45:46], null, s8, v36, 0
	s_lshl_b64 s[0:1], s[2:3], 3
	v_fmac_f32_e32 v7, v16, v31
	s_add_u32 s0, s10, s0
	s_addc_u32 s1, s11, s1
	v_add_co_u32 v31, vcc_lo, s0, v23
	v_mov_b32_e32 v44, v28
	v_mad_u64_u32 v[28:29], null, s8, v35, 0
	v_add_co_ci_u32_e32 v33, vcc_lo, s1, v24, vcc_lo
	v_lshlrev_b64 v[23:24], 3, v[37:38]
	v_mov_b32_e32 v8, v46
	v_lshlrev_b64 v[37:38], 3, v[43:44]
	v_fma_f32 v14, v14, v61, -v48
	v_mad_u64_u32 v[47:48], null, s8, v32, 0
	v_mad_u64_u32 v[42:43], null, s9, v36, v[8:9]
	v_add_co_u32 v23, vcc_lo, v31, v23
	v_mov_b32_e32 v8, v29
	v_mad_u64_u32 v[43:44], null, s8, v34, 0
	v_add_co_ci_u32_e32 v24, vcc_lo, v33, v24, vcc_lo
	v_add_co_u32 v36, vcc_lo, v31, v37
	v_add_co_ci_u32_e32 v37, vcc_lo, v33, v38, vcc_lo
	v_mad_u64_u32 v[38:39], null, s9, v35, v[8:9]
	v_mov_b32_e32 v46, v42
	v_mov_b32_e32 v8, v44
	global_store_dwordx2 v[23:24], v[40:41], off
	global_store_dwordx2 v[36:37], v[6:7], off
	v_add_nc_u32_e32 v16, 12, v13
	v_lshlrev_b64 v[6:7], 3, v[45:46]
	v_mov_b32_e32 v29, v38
	v_mad_u64_u32 v[23:24], null, s9, v34, v[8:9]
	v_mov_b32_e32 v8, v48
	v_fmac_f32_e32 v10, v54, v64
	v_lshlrev_b64 v[24:25], 3, v[28:29]
	v_add_co_u32 v6, vcc_lo, v31, v6
	v_mad_u64_u32 v[28:29], null, s9, v32, v[8:9]
	v_mad_u64_u32 v[29:30], null, s8, v13, 0
	v_add_co_ci_u32_e32 v7, vcc_lo, v33, v7, vcc_lo
	v_mov_b32_e32 v44, v23
	v_add_co_u32 v23, vcc_lo, v31, v24
	global_store_dwordx2 v[6:7], v[19:20], off
	v_mov_b32_e32 v6, v30
	v_lshlrev_b64 v[7:8], 3, v[43:44]
	v_add_co_ci_u32_e32 v24, vcc_lo, v33, v25, vcc_lo
	v_mov_b32_e32 v48, v28
	v_add_nc_u32_e32 v25, 36, v13
	v_mad_u64_u32 v[19:20], null, s9, v13, v[6:7]
	global_store_dwordx2 v[23:24], v[0:1], off
	v_lshlrev_b64 v[0:1], 3, v[47:48]
	v_add_co_u32 v6, vcc_lo, v31, v7
	v_add_co_ci_u32_e32 v7, vcc_lo, v33, v8, vcc_lo
	v_mov_b32_e32 v30, v19
	v_mad_u64_u32 v[19:20], null, s8, v16, 0
	v_add_co_u32 v0, vcc_lo, v31, v0
	v_add_co_ci_u32_e32 v1, vcc_lo, v33, v1, vcc_lo
	global_store_dwordx2 v[6:7], v[17:18], off
	v_add_nc_u32_e32 v18, 24, v13
	v_mad_u64_u32 v[7:8], null, s8, v25, 0
	v_mov_b32_e32 v6, v20
	global_store_dwordx2 v[0:1], v[2:3], off
	v_mad_u64_u32 v[2:3], null, s8, v18, 0
	v_lshlrev_b64 v[0:1], 3, v[29:30]
	v_mad_u64_u32 v[16:17], null, s9, v16, v[6:7]
	v_add_nc_u32_e32 v6, 48, v13
	v_add_nc_u32_e32 v13, 60, v13
	v_mad_u64_u32 v[17:18], null, s9, v18, v[3:4]
	v_mov_b32_e32 v3, v8
	v_mad_u64_u32 v[23:24], null, s8, v6, 0
	v_add_co_u32 v0, vcc_lo, v31, v0
	v_add_co_ci_u32_e32 v1, vcc_lo, v33, v1, vcc_lo
	v_mad_u64_u32 v[28:29], null, s9, v25, v[3:4]
	v_mad_u64_u32 v[29:30], null, s8, v13, 0
	global_store_dwordx2 v[0:1], v[4:5], off
	v_mov_b32_e32 v0, v24
	v_mov_b32_e32 v3, v17
	;; [unrolled: 1-line block ×4, first 2 shown]
	v_mad_u64_u32 v[0:1], null, s9, v6, v[0:1]
	v_lshlrev_b64 v[2:3], 3, v[2:3]
	v_mov_b32_e32 v1, v30
	v_lshlrev_b64 v[4:5], 3, v[19:20]
	v_lshlrev_b64 v[6:7], 3, v[7:8]
	v_mad_u64_u32 v[16:17], null, s9, v13, v[1:2]
	v_add_co_u32 v4, vcc_lo, v31, v4
	v_mov_b32_e32 v24, v0
	v_add_co_ci_u32_e32 v5, vcc_lo, v33, v5, vcc_lo
	v_add_co_u32 v0, vcc_lo, v31, v2
	v_mov_b32_e32 v30, v16
	v_add_co_ci_u32_e32 v1, vcc_lo, v33, v3, vcc_lo
	v_lshlrev_b64 v[2:3], 3, v[23:24]
	v_add_co_u32 v6, vcc_lo, v31, v6
	v_lshlrev_b64 v[16:17], 3, v[29:30]
	v_add_co_ci_u32_e32 v7, vcc_lo, v33, v7, vcc_lo
	v_add_co_u32 v2, vcc_lo, v31, v2
	v_add_co_ci_u32_e32 v3, vcc_lo, v33, v3, vcc_lo
	v_add_co_u32 v16, vcc_lo, v31, v16
	v_add_co_ci_u32_e32 v17, vcc_lo, v33, v17, vcc_lo
	global_store_dwordx2 v[4:5], v[26:27], off
	global_store_dwordx2 v[0:1], v[21:22], off
	;; [unrolled: 1-line block ×5, first 2 shown]
.LBB0_12:
	s_endpgm
	.section	.rodata,"a",@progbits
	.p2align	6, 0x0
	.amdhsa_kernel fft_rtc_fwd_len72_factors_2_6_6_wgs_192_tpt_6_halfLds_dim2_sp_ip_CI_sbcc_twdbase8_3step_dirReg
		.amdhsa_group_segment_fixed_size 0
		.amdhsa_private_segment_fixed_size 0
		.amdhsa_kernarg_size 88
		.amdhsa_user_sgpr_count 6
		.amdhsa_user_sgpr_private_segment_buffer 1
		.amdhsa_user_sgpr_dispatch_ptr 0
		.amdhsa_user_sgpr_queue_ptr 0
		.amdhsa_user_sgpr_kernarg_segment_ptr 1
		.amdhsa_user_sgpr_dispatch_id 0
		.amdhsa_user_sgpr_flat_scratch_init 0
		.amdhsa_user_sgpr_private_segment_size 0
		.amdhsa_wavefront_size32 1
		.amdhsa_uses_dynamic_stack 0
		.amdhsa_system_sgpr_private_segment_wavefront_offset 0
		.amdhsa_system_sgpr_workgroup_id_x 1
		.amdhsa_system_sgpr_workgroup_id_y 0
		.amdhsa_system_sgpr_workgroup_id_z 0
		.amdhsa_system_sgpr_workgroup_info 0
		.amdhsa_system_vgpr_workitem_id 0
		.amdhsa_next_free_vgpr 88
		.amdhsa_next_free_sgpr 22
		.amdhsa_reserve_vcc 1
		.amdhsa_reserve_flat_scratch 0
		.amdhsa_float_round_mode_32 0
		.amdhsa_float_round_mode_16_64 0
		.amdhsa_float_denorm_mode_32 3
		.amdhsa_float_denorm_mode_16_64 3
		.amdhsa_dx10_clamp 1
		.amdhsa_ieee_mode 1
		.amdhsa_fp16_overflow 0
		.amdhsa_workgroup_processor_mode 1
		.amdhsa_memory_ordered 1
		.amdhsa_forward_progress 0
		.amdhsa_shared_vgpr_count 0
		.amdhsa_exception_fp_ieee_invalid_op 0
		.amdhsa_exception_fp_denorm_src 0
		.amdhsa_exception_fp_ieee_div_zero 0
		.amdhsa_exception_fp_ieee_overflow 0
		.amdhsa_exception_fp_ieee_underflow 0
		.amdhsa_exception_fp_ieee_inexact 0
		.amdhsa_exception_int_div_zero 0
	.end_amdhsa_kernel
	.text
.Lfunc_end0:
	.size	fft_rtc_fwd_len72_factors_2_6_6_wgs_192_tpt_6_halfLds_dim2_sp_ip_CI_sbcc_twdbase8_3step_dirReg, .Lfunc_end0-fft_rtc_fwd_len72_factors_2_6_6_wgs_192_tpt_6_halfLds_dim2_sp_ip_CI_sbcc_twdbase8_3step_dirReg
                                        ; -- End function
	.section	.AMDGPU.csdata,"",@progbits
; Kernel info:
; codeLenInByte = 6852
; NumSgprs: 24
; NumVgprs: 88
; ScratchSize: 0
; MemoryBound: 0
; FloatMode: 240
; IeeeMode: 1
; LDSByteSize: 0 bytes/workgroup (compile time only)
; SGPRBlocks: 2
; VGPRBlocks: 10
; NumSGPRsForWavesPerEU: 24
; NumVGPRsForWavesPerEU: 88
; Occupancy: 10
; WaveLimiterHint : 1
; COMPUTE_PGM_RSRC2:SCRATCH_EN: 0
; COMPUTE_PGM_RSRC2:USER_SGPR: 6
; COMPUTE_PGM_RSRC2:TRAP_HANDLER: 0
; COMPUTE_PGM_RSRC2:TGID_X_EN: 1
; COMPUTE_PGM_RSRC2:TGID_Y_EN: 0
; COMPUTE_PGM_RSRC2:TGID_Z_EN: 0
; COMPUTE_PGM_RSRC2:TIDIG_COMP_CNT: 0
	.text
	.p2alignl 6, 3214868480
	.fill 48, 4, 3214868480
	.type	__hip_cuid_b1b8172d472a19f,@object ; @__hip_cuid_b1b8172d472a19f
	.section	.bss,"aw",@nobits
	.globl	__hip_cuid_b1b8172d472a19f
__hip_cuid_b1b8172d472a19f:
	.byte	0                               ; 0x0
	.size	__hip_cuid_b1b8172d472a19f, 1

	.ident	"AMD clang version 19.0.0git (https://github.com/RadeonOpenCompute/llvm-project roc-6.4.0 25133 c7fe45cf4b819c5991fe208aaa96edf142730f1d)"
	.section	".note.GNU-stack","",@progbits
	.addrsig
	.addrsig_sym __hip_cuid_b1b8172d472a19f
	.amdgpu_metadata
---
amdhsa.kernels:
  - .args:
      - .actual_access:  read_only
        .address_space:  global
        .offset:         0
        .size:           8
        .value_kind:     global_buffer
      - .address_space:  global
        .offset:         8
        .size:           8
        .value_kind:     global_buffer
      - .actual_access:  read_only
        .address_space:  global
        .offset:         16
        .size:           8
        .value_kind:     global_buffer
      - .actual_access:  read_only
        .address_space:  global
        .offset:         24
        .size:           8
        .value_kind:     global_buffer
      - .offset:         32
        .size:           8
        .value_kind:     by_value
      - .actual_access:  read_only
        .address_space:  global
        .offset:         40
        .size:           8
        .value_kind:     global_buffer
      - .actual_access:  read_only
        .address_space:  global
        .offset:         48
        .size:           8
        .value_kind:     global_buffer
      - .offset:         56
        .size:           4
        .value_kind:     by_value
      - .actual_access:  read_only
        .address_space:  global
        .offset:         64
        .size:           8
        .value_kind:     global_buffer
      - .actual_access:  read_only
        .address_space:  global
        .offset:         72
        .size:           8
        .value_kind:     global_buffer
      - .address_space:  global
        .offset:         80
        .size:           8
        .value_kind:     global_buffer
    .group_segment_fixed_size: 0
    .kernarg_segment_align: 8
    .kernarg_segment_size: 88
    .language:       OpenCL C
    .language_version:
      - 2
      - 0
    .max_flat_workgroup_size: 192
    .name:           fft_rtc_fwd_len72_factors_2_6_6_wgs_192_tpt_6_halfLds_dim2_sp_ip_CI_sbcc_twdbase8_3step_dirReg
    .private_segment_fixed_size: 0
    .sgpr_count:     24
    .sgpr_spill_count: 0
    .symbol:         fft_rtc_fwd_len72_factors_2_6_6_wgs_192_tpt_6_halfLds_dim2_sp_ip_CI_sbcc_twdbase8_3step_dirReg.kd
    .uniform_work_group_size: 1
    .uses_dynamic_stack: false
    .vgpr_count:     88
    .vgpr_spill_count: 0
    .wavefront_size: 32
    .workgroup_processor_mode: 1
amdhsa.target:   amdgcn-amd-amdhsa--gfx1030
amdhsa.version:
  - 1
  - 2
...

	.end_amdgpu_metadata
